;; amdgpu-corpus repo=ROCm/rocFFT kind=compiled arch=gfx906 opt=O3
	.text
	.amdgcn_target "amdgcn-amd-amdhsa--gfx906"
	.amdhsa_code_object_version 6
	.protected	fft_rtc_back_len650_factors_10_5_13_wgs_195_tpt_65_sp_op_CI_CI_unitstride_sbrr_C2R_dirReg ; -- Begin function fft_rtc_back_len650_factors_10_5_13_wgs_195_tpt_65_sp_op_CI_CI_unitstride_sbrr_C2R_dirReg
	.globl	fft_rtc_back_len650_factors_10_5_13_wgs_195_tpt_65_sp_op_CI_CI_unitstride_sbrr_C2R_dirReg
	.p2align	8
	.type	fft_rtc_back_len650_factors_10_5_13_wgs_195_tpt_65_sp_op_CI_CI_unitstride_sbrr_C2R_dirReg,@function
fft_rtc_back_len650_factors_10_5_13_wgs_195_tpt_65_sp_op_CI_CI_unitstride_sbrr_C2R_dirReg: ; @fft_rtc_back_len650_factors_10_5_13_wgs_195_tpt_65_sp_op_CI_CI_unitstride_sbrr_C2R_dirReg
; %bb.0:
	s_load_dwordx4 s[8:11], s[4:5], 0x58
	s_load_dwordx4 s[12:15], s[4:5], 0x0
	;; [unrolled: 1-line block ×3, first 2 shown]
	v_mul_u32_u24_e32 v1, 0x3f1, v0
	v_lshrrev_b32_e32 v1, 16, v1
	v_mad_u64_u32 v[3:4], s[0:1], s6, 3, v[1:2]
	v_mov_b32_e32 v5, 0
	v_mov_b32_e32 v1, 0
	;; [unrolled: 1-line block ×3, first 2 shown]
	s_waitcnt lgkmcnt(0)
	v_cmp_lt_u64_e64 s[0:1], s[14:15], 2
	v_mov_b32_e32 v2, 0
	v_mov_b32_e32 v27, v2
	;; [unrolled: 1-line block ×3, first 2 shown]
	s_and_b64 vcc, exec, s[0:1]
	v_mov_b32_e32 v26, v1
	v_mov_b32_e32 v28, v3
	s_cbranch_vccnz .LBB0_8
; %bb.1:
	s_load_dwordx2 s[0:1], s[4:5], 0x10
	s_add_u32 s2, s18, 8
	s_addc_u32 s3, s19, 0
	s_add_u32 s6, s16, 8
	v_mov_b32_e32 v1, 0
	s_addc_u32 s7, s17, 0
	v_mov_b32_e32 v2, 0
	s_waitcnt lgkmcnt(0)
	s_add_u32 s20, s0, 8
	v_mov_b32_e32 v27, v2
	v_mov_b32_e32 v8, v4
	s_addc_u32 s21, s1, 0
	s_mov_b64 s[22:23], 1
	v_mov_b32_e32 v26, v1
	v_mov_b32_e32 v7, v3
.LBB0_2:                                ; =>This Inner Loop Header: Depth=1
	s_load_dwordx2 s[24:25], s[20:21], 0x0
                                        ; implicit-def: $vgpr28_vgpr29
	s_waitcnt lgkmcnt(0)
	v_or_b32_e32 v6, s25, v8
	v_cmp_ne_u64_e32 vcc, 0, v[5:6]
	s_and_saveexec_b64 s[0:1], vcc
	s_xor_b64 s[26:27], exec, s[0:1]
	s_cbranch_execz .LBB0_4
; %bb.3:                                ;   in Loop: Header=BB0_2 Depth=1
	v_cvt_f32_u32_e32 v4, s24
	v_cvt_f32_u32_e32 v6, s25
	s_sub_u32 s0, 0, s24
	s_subb_u32 s1, 0, s25
	v_mac_f32_e32 v4, 0x4f800000, v6
	v_rcp_f32_e32 v4, v4
	v_mul_f32_e32 v4, 0x5f7ffffc, v4
	v_mul_f32_e32 v6, 0x2f800000, v4
	v_trunc_f32_e32 v6, v6
	v_mac_f32_e32 v4, 0xcf800000, v6
	v_cvt_u32_f32_e32 v6, v6
	v_cvt_u32_f32_e32 v4, v4
	v_mul_lo_u32 v9, s0, v6
	v_mul_hi_u32 v10, s0, v4
	v_mul_lo_u32 v12, s1, v4
	v_mul_lo_u32 v11, s0, v4
	v_add_u32_e32 v9, v10, v9
	v_add_u32_e32 v9, v9, v12
	v_mul_hi_u32 v10, v4, v11
	v_mul_lo_u32 v12, v4, v9
	v_mul_hi_u32 v14, v4, v9
	v_mul_hi_u32 v13, v6, v11
	v_mul_lo_u32 v11, v6, v11
	v_mul_hi_u32 v15, v6, v9
	v_add_co_u32_e32 v10, vcc, v10, v12
	v_addc_co_u32_e32 v12, vcc, 0, v14, vcc
	v_mul_lo_u32 v9, v6, v9
	v_add_co_u32_e32 v10, vcc, v10, v11
	v_addc_co_u32_e32 v10, vcc, v12, v13, vcc
	v_addc_co_u32_e32 v11, vcc, 0, v15, vcc
	v_add_co_u32_e32 v9, vcc, v10, v9
	v_addc_co_u32_e32 v10, vcc, 0, v11, vcc
	v_add_co_u32_e32 v4, vcc, v4, v9
	v_addc_co_u32_e32 v6, vcc, v6, v10, vcc
	v_mul_lo_u32 v9, s0, v6
	v_mul_hi_u32 v10, s0, v4
	v_mul_lo_u32 v11, s1, v4
	v_mul_lo_u32 v12, s0, v4
	v_add_u32_e32 v9, v10, v9
	v_add_u32_e32 v9, v9, v11
	v_mul_lo_u32 v13, v4, v9
	v_mul_hi_u32 v14, v4, v12
	v_mul_hi_u32 v15, v4, v9
	;; [unrolled: 1-line block ×3, first 2 shown]
	v_mul_lo_u32 v12, v6, v12
	v_mul_hi_u32 v10, v6, v9
	v_add_co_u32_e32 v13, vcc, v14, v13
	v_addc_co_u32_e32 v14, vcc, 0, v15, vcc
	v_mul_lo_u32 v9, v6, v9
	v_add_co_u32_e32 v12, vcc, v13, v12
	v_addc_co_u32_e32 v11, vcc, v14, v11, vcc
	v_addc_co_u32_e32 v10, vcc, 0, v10, vcc
	v_add_co_u32_e32 v9, vcc, v11, v9
	v_addc_co_u32_e32 v10, vcc, 0, v10, vcc
	v_add_co_u32_e32 v4, vcc, v4, v9
	v_addc_co_u32_e32 v6, vcc, v6, v10, vcc
	v_mad_u64_u32 v[9:10], s[0:1], v7, v6, 0
	v_mul_hi_u32 v11, v7, v4
	v_add_co_u32_e32 v13, vcc, v11, v9
	v_addc_co_u32_e32 v14, vcc, 0, v10, vcc
	v_mad_u64_u32 v[9:10], s[0:1], v8, v4, 0
	v_mad_u64_u32 v[11:12], s[0:1], v8, v6, 0
	v_add_co_u32_e32 v4, vcc, v13, v9
	v_addc_co_u32_e32 v4, vcc, v14, v10, vcc
	v_addc_co_u32_e32 v6, vcc, 0, v12, vcc
	v_add_co_u32_e32 v4, vcc, v4, v11
	v_addc_co_u32_e32 v6, vcc, 0, v6, vcc
	v_mul_lo_u32 v11, s25, v4
	v_mul_lo_u32 v12, s24, v6
	v_mad_u64_u32 v[9:10], s[0:1], s24, v4, 0
	v_add3_u32 v10, v10, v12, v11
	v_sub_u32_e32 v11, v8, v10
	v_mov_b32_e32 v12, s25
	v_sub_co_u32_e32 v9, vcc, v7, v9
	v_subb_co_u32_e64 v11, s[0:1], v11, v12, vcc
	v_subrev_co_u32_e64 v12, s[0:1], s24, v9
	v_subbrev_co_u32_e64 v11, s[0:1], 0, v11, s[0:1]
	v_cmp_le_u32_e64 s[0:1], s25, v11
	v_cndmask_b32_e64 v13, 0, -1, s[0:1]
	v_cmp_le_u32_e64 s[0:1], s24, v12
	v_cndmask_b32_e64 v12, 0, -1, s[0:1]
	v_cmp_eq_u32_e64 s[0:1], s25, v11
	v_cndmask_b32_e64 v11, v13, v12, s[0:1]
	v_add_co_u32_e64 v12, s[0:1], 2, v4
	v_addc_co_u32_e64 v13, s[0:1], 0, v6, s[0:1]
	v_add_co_u32_e64 v14, s[0:1], 1, v4
	v_addc_co_u32_e64 v15, s[0:1], 0, v6, s[0:1]
	v_subb_co_u32_e32 v10, vcc, v8, v10, vcc
	v_cmp_ne_u32_e64 s[0:1], 0, v11
	v_cmp_le_u32_e32 vcc, s25, v10
	v_cndmask_b32_e64 v11, v15, v13, s[0:1]
	v_cndmask_b32_e64 v13, 0, -1, vcc
	v_cmp_le_u32_e32 vcc, s24, v9
	v_cndmask_b32_e64 v9, 0, -1, vcc
	v_cmp_eq_u32_e32 vcc, s25, v10
	v_cndmask_b32_e32 v9, v13, v9, vcc
	v_cmp_ne_u32_e32 vcc, 0, v9
	v_cndmask_b32_e32 v29, v6, v11, vcc
	v_cndmask_b32_e64 v6, v14, v12, s[0:1]
	v_cndmask_b32_e32 v28, v4, v6, vcc
.LBB0_4:                                ;   in Loop: Header=BB0_2 Depth=1
	s_andn2_saveexec_b64 s[0:1], s[26:27]
	s_cbranch_execz .LBB0_6
; %bb.5:                                ;   in Loop: Header=BB0_2 Depth=1
	v_cvt_f32_u32_e32 v4, s24
	s_sub_i32 s26, 0, s24
	v_mov_b32_e32 v29, v5
	v_rcp_iflag_f32_e32 v4, v4
	v_mul_f32_e32 v4, 0x4f7ffffe, v4
	v_cvt_u32_f32_e32 v4, v4
	v_mul_lo_u32 v6, s26, v4
	v_mul_hi_u32 v6, v4, v6
	v_add_u32_e32 v4, v4, v6
	v_mul_hi_u32 v4, v7, v4
	v_mul_lo_u32 v6, v4, s24
	v_add_u32_e32 v9, 1, v4
	v_sub_u32_e32 v6, v7, v6
	v_subrev_u32_e32 v10, s24, v6
	v_cmp_le_u32_e32 vcc, s24, v6
	v_cndmask_b32_e32 v6, v6, v10, vcc
	v_cndmask_b32_e32 v4, v4, v9, vcc
	v_add_u32_e32 v9, 1, v4
	v_cmp_le_u32_e32 vcc, s24, v6
	v_cndmask_b32_e32 v28, v4, v9, vcc
.LBB0_6:                                ;   in Loop: Header=BB0_2 Depth=1
	s_or_b64 exec, exec, s[0:1]
	v_mul_lo_u32 v4, v29, s24
	v_mul_lo_u32 v6, v28, s25
	v_mad_u64_u32 v[9:10], s[0:1], v28, s24, 0
	s_load_dwordx2 s[0:1], s[6:7], 0x0
	s_load_dwordx2 s[24:25], s[2:3], 0x0
	v_add3_u32 v4, v10, v6, v4
	v_sub_co_u32_e32 v6, vcc, v7, v9
	v_subb_co_u32_e32 v4, vcc, v8, v4, vcc
	s_waitcnt lgkmcnt(0)
	v_mul_lo_u32 v7, s0, v4
	v_mul_lo_u32 v8, s1, v6
	v_mad_u64_u32 v[1:2], s[0:1], s0, v6, v[1:2]
	s_add_u32 s22, s22, 1
	s_addc_u32 s23, s23, 0
	s_add_u32 s2, s2, 8
	v_mul_lo_u32 v4, s24, v4
	v_mul_lo_u32 v9, s25, v6
	v_mad_u64_u32 v[26:27], s[0:1], s24, v6, v[26:27]
	v_add3_u32 v2, v8, v2, v7
	s_addc_u32 s3, s3, 0
	v_mov_b32_e32 v6, s14
	s_add_u32 s6, s6, 8
	v_mov_b32_e32 v7, s15
	s_addc_u32 s7, s7, 0
	v_cmp_ge_u64_e32 vcc, s[22:23], v[6:7]
	s_add_u32 s20, s20, 8
	v_add3_u32 v27, v9, v27, v4
	s_addc_u32 s21, s21, 0
	s_cbranch_vccnz .LBB0_8
; %bb.7:                                ;   in Loop: Header=BB0_2 Depth=1
	v_mov_b32_e32 v7, v28
	v_mov_b32_e32 v8, v29
	s_branch .LBB0_2
.LBB0_8:
	s_mov_b32 s0, 0xaaaaaaab
	s_load_dwordx2 s[4:5], s[4:5], 0x28
	v_mul_hi_u32 v4, v3, s0
	s_lshl_b64 s[6:7], s[14:15], 3
	s_add_u32 s2, s18, s6
	s_addc_u32 s3, s19, s7
	v_lshrrev_b32_e32 v4, 1, v4
	v_lshl_add_u32 v4, v4, 1, v4
	s_waitcnt lgkmcnt(0)
	v_cmp_gt_u64_e64 s[0:1], s[4:5], v[28:29]
	v_cmp_le_u64_e32 vcc, s[4:5], v[28:29]
	v_sub_u32_e32 v3, v3, v4
                                        ; implicit-def: $vgpr30
	s_and_saveexec_b64 s[4:5], vcc
	s_xor_b64 s[4:5], exec, s[4:5]
; %bb.9:
	s_mov_b32 s14, 0x3f03f04
	v_mul_hi_u32 v1, v0, s14
	v_mul_u32_u24_e32 v1, 0x41, v1
	v_sub_u32_e32 v30, v0, v1
                                        ; implicit-def: $vgpr0
                                        ; implicit-def: $vgpr1_vgpr2
; %bb.10:
	s_or_saveexec_b64 s[4:5], s[4:5]
	s_load_dwordx2 s[2:3], s[2:3], 0x0
	v_mul_u32_u24_e32 v3, 0x28b, v3
	v_lshlrev_b32_e32 v4, 3, v3
	s_xor_b64 exec, exec, s[4:5]
	s_cbranch_execz .LBB0_14
; %bb.11:
	s_add_u32 s6, s16, s6
	s_addc_u32 s7, s17, s7
	s_load_dwordx2 s[6:7], s[6:7], 0x0
	s_mov_b32 s14, 0x3f03f04
	v_mul_hi_u32 v7, v0, s14
	v_lshlrev_b64 v[1:2], 3, v[1:2]
	s_waitcnt lgkmcnt(0)
	v_mul_lo_u32 v8, s7, v28
	v_mul_lo_u32 v9, s6, v29
	v_mad_u64_u32 v[5:6], s[6:7], s6, v28, 0
	v_mul_u32_u24_e32 v7, 0x41, v7
	v_sub_u32_e32 v30, v0, v7
	v_add3_u32 v6, v6, v9, v8
	v_lshlrev_b64 v[5:6], 3, v[5:6]
	v_mov_b32_e32 v0, s9
	v_add_co_u32_e32 v5, vcc, s8, v5
	v_addc_co_u32_e32 v0, vcc, v0, v6, vcc
	v_add_co_u32_e32 v1, vcc, v5, v1
	v_addc_co_u32_e32 v0, vcc, v0, v2, vcc
	v_lshlrev_b32_e32 v2, 3, v30
	v_add_co_u32_e32 v5, vcc, v1, v2
	v_addc_co_u32_e32 v6, vcc, 0, v0, vcc
	v_add_co_u32_e32 v15, vcc, 0x1000, v5
	global_load_dwordx2 v[7:8], v[5:6], off
	global_load_dwordx2 v[9:10], v[5:6], off offset:520
	global_load_dwordx2 v[11:12], v[5:6], off offset:1040
	;; [unrolled: 1-line block ×3, first 2 shown]
	v_addc_co_u32_e32 v16, vcc, 0, v6, vcc
	global_load_dwordx2 v[17:18], v[5:6], off offset:2080
	global_load_dwordx2 v[19:20], v[5:6], off offset:2600
	;; [unrolled: 1-line block ×6, first 2 shown]
	v_add3_u32 v2, 0, v4, v2
	v_cmp_eq_u32_e32 vcc, 64, v30
	v_add_u32_e32 v5, 0x800, v2
	v_add_u32_e32 v6, 0x1000, v2
	s_waitcnt vmcnt(8)
	ds_write2_b64 v2, v[7:8], v[9:10] offset1:65
	s_waitcnt vmcnt(6)
	ds_write2_b64 v2, v[11:12], v[13:14] offset0:130 offset1:195
	s_waitcnt vmcnt(4)
	ds_write2_b64 v5, v[17:18], v[19:20] offset0:4 offset1:69
	;; [unrolled: 2-line block ×4, first 2 shown]
	s_and_saveexec_b64 s[6:7], vcc
	s_cbranch_execz .LBB0_13
; %bb.12:
	v_add_co_u32_e32 v5, vcc, 0x1000, v1
	v_addc_co_u32_e32 v6, vcc, 0, v0, vcc
	global_load_dwordx2 v[0:1], v[5:6], off offset:1104
	v_mov_b32_e32 v30, 64
	s_waitcnt vmcnt(0)
	ds_write_b64 v2, v[0:1] offset:4688
.LBB0_13:
	s_or_b64 exec, exec, s[6:7]
.LBB0_14:
	s_or_b64 exec, exec, s[4:5]
	v_lshl_add_u32 v33, v3, 3, 0
	v_lshlrev_b32_e32 v6, 3, v30
	v_add_u32_e32 v34, v33, v6
	s_waitcnt lgkmcnt(0)
	s_barrier
	v_sub_u32_e32 v5, v33, v6
	ds_read_b32 v7, v34
	ds_read_b32 v8, v5 offset:5200
	s_add_u32 s6, s12, 0x1400
	s_addc_u32 s7, s13, 0
	v_cmp_ne_u32_e32 vcc, 0, v30
                                        ; implicit-def: $vgpr2_vgpr3
	s_waitcnt lgkmcnt(0)
	v_add_f32_e32 v0, v8, v7
	v_sub_f32_e32 v1, v7, v8
	s_and_saveexec_b64 s[4:5], vcc
	s_xor_b64 s[4:5], exec, s[4:5]
	s_cbranch_execz .LBB0_16
; %bb.15:
	v_mov_b32_e32 v31, 0
	v_lshlrev_b64 v[0:1], 3, v[30:31]
	v_mov_b32_e32 v2, s7
	v_add_co_u32_e32 v0, vcc, s6, v0
	v_addc_co_u32_e32 v1, vcc, v2, v1, vcc
	global_load_dwordx2 v[2:3], v[0:1], off
	ds_read_b32 v0, v5 offset:5204
	ds_read_b32 v1, v34 offset:4
	v_add_f32_e32 v9, v8, v7
	v_sub_f32_e32 v10, v7, v8
	s_waitcnt lgkmcnt(0)
	v_add_f32_e32 v11, v0, v1
	v_sub_f32_e32 v0, v1, v0
	s_waitcnt vmcnt(0)
	v_fma_f32 v12, v10, v3, v9
	v_fma_f32 v1, v11, v3, v0
	v_fma_f32 v7, -v10, v3, v9
	v_fma_f32 v8, v11, v3, -v0
	v_fma_f32 v0, -v2, v11, v12
	v_fmac_f32_e32 v1, v10, v2
	v_fmac_f32_e32 v7, v2, v11
	;; [unrolled: 1-line block ×3, first 2 shown]
	v_mov_b32_e32 v2, v30
	ds_write_b64 v5, v[7:8] offset:5200
	v_mov_b32_e32 v3, v31
.LBB0_16:
	s_andn2_saveexec_b64 s[4:5], s[4:5]
	s_cbranch_execz .LBB0_18
; %bb.17:
	ds_read_b64 v[2:3], v33 offset:2600
	s_waitcnt lgkmcnt(0)
	v_add_f32_e32 v7, v2, v2
	v_mul_f32_e32 v8, -2.0, v3
	v_mov_b32_e32 v2, 0
	v_mov_b32_e32 v3, 0
	ds_write_b64 v33, v[7:8] offset:2600
.LBB0_18:
	s_or_b64 exec, exec, s[4:5]
	v_lshlrev_b64 v[2:3], 3, v[2:3]
	v_mov_b32_e32 v7, s7
	v_add_co_u32_e32 v2, vcc, s6, v2
	v_addc_co_u32_e32 v3, vcc, v7, v3, vcc
	global_load_dwordx2 v[7:8], v[2:3], off offset:520
	global_load_dwordx2 v[9:10], v[2:3], off offset:1040
	;; [unrolled: 1-line block ×4, first 2 shown]
	ds_write_b64 v34, v[0:1]
	ds_read_b64 v[0:1], v34 offset:520
	ds_read_b64 v[2:3], v5 offset:4680
	v_add3_u32 v35, 0, v6, v4
	v_add_u32_e32 v20, 0x800, v35
	v_add_u32_e32 v6, 0xc00, v35
	s_movk_i32 s4, 0x48
	s_waitcnt lgkmcnt(0)
	v_add_f32_e32 v15, v0, v2
	v_add_f32_e32 v16, v3, v1
	v_sub_f32_e32 v17, v0, v2
	v_sub_f32_e32 v2, v1, v3
	v_cmp_gt_u32_e32 vcc, 50, v30
	s_waitcnt vmcnt(3)
	v_fma_f32 v18, v17, v8, v15
	v_fma_f32 v3, v16, v8, v2
	v_fma_f32 v0, -v17, v8, v15
	v_fma_f32 v1, v16, v8, -v2
	v_fma_f32 v2, -v7, v16, v18
	v_fmac_f32_e32 v3, v17, v7
	v_fmac_f32_e32 v0, v7, v16
	;; [unrolled: 1-line block ×3, first 2 shown]
	ds_write_b64 v34, v[2:3] offset:520
	ds_write_b64 v5, v[0:1] offset:4680
	ds_read_b64 v[0:1], v34 offset:1040
	ds_read_b64 v[2:3], v5 offset:4160
	s_waitcnt lgkmcnt(0)
	v_add_f32_e32 v7, v0, v2
	v_add_f32_e32 v8, v3, v1
	v_sub_f32_e32 v15, v0, v2
	v_sub_f32_e32 v0, v1, v3
	s_waitcnt vmcnt(2)
	v_fma_f32 v16, v15, v10, v7
	v_fma_f32 v1, v8, v10, v0
	v_fma_f32 v2, -v15, v10, v7
	v_fma_f32 v3, v8, v10, -v0
	v_fma_f32 v0, -v9, v8, v16
	v_fmac_f32_e32 v1, v15, v9
	v_fmac_f32_e32 v2, v9, v8
	;; [unrolled: 1-line block ×3, first 2 shown]
	ds_write_b64 v34, v[0:1] offset:1040
	ds_write_b64 v5, v[2:3] offset:4160
	ds_read_b64 v[0:1], v34 offset:1560
	ds_read_b64 v[2:3], v5 offset:3640
	v_add_u32_e32 v16, 0x400, v35
	s_waitcnt lgkmcnt(0)
	v_add_f32_e32 v7, v0, v2
	v_add_f32_e32 v8, v3, v1
	v_sub_f32_e32 v9, v0, v2
	v_sub_f32_e32 v0, v1, v3
	s_waitcnt vmcnt(1)
	v_fma_f32 v10, v9, v12, v7
	v_fma_f32 v1, v8, v12, v0
	v_fma_f32 v2, -v9, v12, v7
	v_fma_f32 v3, v8, v12, -v0
	v_fma_f32 v0, -v11, v8, v10
	v_fmac_f32_e32 v1, v9, v11
	v_fmac_f32_e32 v2, v11, v8
	;; [unrolled: 1-line block ×3, first 2 shown]
	ds_write_b64 v34, v[0:1] offset:1560
	ds_write_b64 v5, v[2:3] offset:3640
	ds_read_b64 v[0:1], v34 offset:2080
	ds_read_b64 v[2:3], v5 offset:3120
	s_waitcnt lgkmcnt(0)
	v_add_f32_e32 v7, v0, v2
	v_add_f32_e32 v8, v3, v1
	v_sub_f32_e32 v9, v0, v2
	v_sub_f32_e32 v0, v1, v3
	s_waitcnt vmcnt(0)
	v_fma_f32 v10, v9, v14, v7
	v_fma_f32 v1, v8, v14, v0
	v_fma_f32 v2, -v9, v14, v7
	v_fma_f32 v3, v8, v14, -v0
	v_fma_f32 v0, -v13, v8, v10
	v_fmac_f32_e32 v1, v9, v13
	v_fmac_f32_e32 v2, v13, v8
	v_fmac_f32_e32 v3, v9, v13
	ds_write_b64 v34, v[0:1] offset:2080
	ds_write_b64 v5, v[2:3] offset:3120
	s_waitcnt lgkmcnt(0)
	s_barrier
	s_barrier
	ds_read2_b64 v[0:3], v20 offset0:69 offset1:134
	ds_read2_b64 v[5:8], v6 offset0:71 offset1:136
	;; [unrolled: 1-line block ×3, first 2 shown]
	ds_read_b64 v[13:14], v35 offset:4680
	ds_read2_b64 v[21:24], v35 offset0:65 offset1:130
	ds_read_b64 v[17:18], v34
	s_waitcnt lgkmcnt(4)
	v_add_f32_e32 v15, v0, v5
	v_add_f32_e32 v25, v1, v6
	s_waitcnt lgkmcnt(2)
	v_add_f32_e32 v19, v9, v13
	s_waitcnt lgkmcnt(1)
	;; [unrolled: 2-line block ×3, first 2 shown]
	v_add_f32_e32 v32, v17, v23
	v_add_f32_e32 v40, v18, v24
	;; [unrolled: 1-line block ×4, first 2 shown]
	v_sub_f32_e32 v36, v24, v8
	v_sub_f32_e32 v37, v23, v11
	;; [unrolled: 1-line block ×4, first 2 shown]
	v_add_f32_e32 v42, v24, v8
	v_sub_f32_e32 v24, v12, v24
	v_add_f32_e32 v45, v11, v2
	v_sub_f32_e32 v46, v12, v3
	;; [unrolled: 2-line block ×3, first 2 shown]
	v_add_f32_e32 v11, v32, v11
	v_add_f32_e32 v12, v40, v12
	;; [unrolled: 1-line block ×4, first 2 shown]
	v_sub_f32_e32 v49, v10, v14
	v_sub_f32_e32 v50, v9, v0
	v_fma_f32 v15, -0.5, v15, v21
	v_fma_f32 v19, -0.5, v19, v21
	;; [unrolled: 1-line block ×4, first 2 shown]
	v_sub_f32_e32 v25, v0, v9
	v_sub_f32_e32 v31, v10, v1
	;; [unrolled: 1-line block ×3, first 2 shown]
	v_add_f32_e32 v12, v12, v3
	v_sub_f32_e32 v52, v1, v6
	v_sub_f32_e32 v53, v0, v5
	v_add_f32_e32 v0, v32, v5
	v_add_f32_e32 v1, v40, v6
	v_sub_f32_e32 v9, v9, v13
	v_add_f32_e32 v11, v11, v2
	v_sub_f32_e32 v43, v7, v2
	v_sub_f32_e32 v44, v2, v7
	;; [unrolled: 1-line block ×4, first 2 shown]
	v_add_f32_e32 v8, v12, v8
	v_sub_f32_e32 v3, v13, v5
	v_sub_f32_e32 v5, v5, v13
	v_add_f32_e32 v12, v0, v13
	v_add_f32_e32 v13, v1, v14
	v_mov_b32_e32 v0, v15
	v_mov_b32_e32 v1, v21
	v_add_f32_e32 v38, v23, v7
	v_sub_f32_e32 v23, v23, v7
	v_add_f32_e32 v7, v11, v7
	v_sub_f32_e32 v11, v14, v6
	v_add_f32_e32 v32, v41, v2
	v_fmac_f32_e32 v0, 0xbf737871, v49
	v_fmac_f32_e32 v1, 0x3f737871, v9
	v_fma_f32 v41, -0.5, v45, v17
	v_fma_f32 v45, -0.5, v47, v18
	v_sub_f32_e32 v6, v6, v14
	v_add_f32_e32 v14, v37, v43
	v_add_f32_e32 v37, v50, v3
	;; [unrolled: 1-line block ×3, first 2 shown]
	v_fmac_f32_e32 v0, 0xbf167918, v52
	v_fmac_f32_e32 v1, 0x3f167918, v53
	v_mov_b32_e32 v43, v41
	v_mov_b32_e32 v47, v45
	v_fmac_f32_e32 v0, 0x3e9e377a, v37
	v_fmac_f32_e32 v1, 0x3e9e377a, v11
	;; [unrolled: 1-line block ×4, first 2 shown]
	v_mul_f32_e32 v31, 0xbf167918, v1
	v_mul_f32_e32 v40, 0x3f167918, v0
	v_fmac_f32_e32 v43, 0xbf167918, v46
	v_fmac_f32_e32 v47, 0x3f167918, v48
	v_fma_f32 v17, -0.5, v38, v17
	v_fmac_f32_e32 v31, 0x3f4f1bbd, v0
	v_fmac_f32_e32 v40, 0x3f4f1bbd, v1
	v_fmac_f32_e32 v43, 0x3e9e377a, v14
	v_fmac_f32_e32 v47, 0x3e9e377a, v32
	v_mov_b32_e32 v38, v17
	v_add_f32_e32 v0, v7, v12
	v_add_f32_e32 v1, v8, v13
	;; [unrolled: 1-line block ×4, first 2 shown]
	v_mad_u32_u24 v50, v30, s4, v35
	v_fmac_f32_e32 v38, 0x3f737871, v46
	v_fmac_f32_e32 v17, 0xbf737871, v46
	s_barrier
	ds_write2_b64 v50, v[0:1], v[2:3] offset1:1
	v_add_f32_e32 v0, v39, v44
	v_fmac_f32_e32 v38, 0xbf167918, v36
	v_fmac_f32_e32 v17, 0x3f167918, v36
	v_fmac_f32_e32 v18, -0.5, v42
	v_fmac_f32_e32 v38, 0x3e9e377a, v0
	v_fmac_f32_e32 v17, 0x3e9e377a, v0
	v_add_f32_e32 v0, v24, v51
	v_mov_b32_e32 v24, v18
	v_fmac_f32_e32 v24, 0xbf737871, v48
	v_fmac_f32_e32 v18, 0x3f737871, v48
	v_mov_b32_e32 v1, v19
	v_fmac_f32_e32 v24, 0x3f167918, v23
	v_fmac_f32_e32 v18, 0xbf167918, v23
	;; [unrolled: 1-line block ×4, first 2 shown]
	v_mov_b32_e32 v2, v22
	v_fmac_f32_e32 v24, 0x3e9e377a, v0
	v_fmac_f32_e32 v18, 0x3e9e377a, v0
	v_add_f32_e32 v0, v25, v5
	v_fmac_f32_e32 v1, 0xbf167918, v49
	v_fmac_f32_e32 v19, 0x3f167918, v49
	;; [unrolled: 1-line block ×6, first 2 shown]
	v_add_f32_e32 v0, v10, v6
	v_fmac_f32_e32 v2, 0x3f167918, v9
	v_fmac_f32_e32 v22, 0xbf167918, v9
	;; [unrolled: 1-line block ×4, first 2 shown]
	v_mul_f32_e32 v10, 0xbf737871, v2
	v_mul_f32_e32 v25, 0x3e9e377a, v2
	;; [unrolled: 1-line block ×4, first 2 shown]
	v_fmac_f32_e32 v21, 0xbf737871, v9
	v_fmac_f32_e32 v10, 0x3e9e377a, v1
	v_fmac_f32_e32 v25, 0x3f737871, v1
	v_fmac_f32_e32 v5, 0xbe9e377a, v19
	v_fmac_f32_e32 v6, 0x3f737871, v19
	v_fmac_f32_e32 v15, 0x3f737871, v49
	v_fmac_f32_e32 v21, 0xbf167918, v53
	v_add_f32_e32 v0, v38, v10
	v_add_f32_e32 v1, v24, v25
	;; [unrolled: 1-line block ×4, first 2 shown]
	v_fmac_f32_e32 v41, 0x3f737871, v36
	v_fmac_f32_e32 v45, 0xbf737871, v23
	;; [unrolled: 1-line block ×4, first 2 shown]
	ds_write2_b64 v50, v[0:1], v[2:3] offset0:2 offset1:3
	v_sub_f32_e32 v2, v7, v12
	v_fmac_f32_e32 v41, 0x3f167918, v46
	v_fmac_f32_e32 v45, 0xbf167918, v48
	v_fmac_f32_e32 v15, 0x3e9e377a, v37
	v_mul_f32_e32 v11, 0xbf167918, v21
	v_mul_f32_e32 v12, 0xbf4f1bbd, v21
	v_fmac_f32_e32 v41, 0x3e9e377a, v14
	v_fmac_f32_e32 v45, 0x3e9e377a, v32
	;; [unrolled: 1-line block ×4, first 2 shown]
	v_sub_f32_e32 v0, v17, v5
	v_sub_f32_e32 v3, v8, v13
	;; [unrolled: 1-line block ×3, first 2 shown]
	v_add_f32_e32 v9, v41, v11
	v_add_f32_e32 v10, v45, v12
	s_movk_i32 s4, 0xcd
	v_sub_f32_e32 v1, v18, v6
	v_sub_f32_e32 v5, v43, v31
	;; [unrolled: 1-line block ×6, first 2 shown]
	ds_write2_b64 v50, v[9:10], v[2:3] offset0:4 offset1:5
	ds_write2_b64 v50, v[5:6], v[7:8] offset0:6 offset1:7
	;; [unrolled: 1-line block ×3, first 2 shown]
	v_mul_lo_u16_sdwa v0, v30, s4 dst_sel:DWORD dst_unused:UNUSED_PAD src0_sel:BYTE_0 src1_sel:DWORD
	v_lshrrev_b16_e32 v13, 11, v0
	v_mul_lo_u16_e32 v0, 10, v13
	v_sub_u16_e32 v14, v30, v0
	v_mov_b32_e32 v5, 5
	v_add_u16_e32 v6, 0x41, v30
	v_lshlrev_b32_sdwa v15, v5, v14 dst_sel:DWORD dst_unused:UNUSED_PAD src0_sel:DWORD src1_sel:BYTE_0
	v_mul_lo_u16_sdwa v7, v6, s4 dst_sel:DWORD dst_unused:UNUSED_PAD src0_sel:BYTE_0 src1_sel:DWORD
	s_waitcnt lgkmcnt(0)
	s_barrier
	global_load_dwordx4 v[0:3], v15, s[12:13] offset:16
	v_lshrrev_b16_e32 v17, 11, v7
	v_mul_lo_u16_e32 v7, 10, v17
	v_sub_u16_e32 v18, v6, v7
	v_lshlrev_b32_sdwa v19, v5, v18 dst_sel:DWORD dst_unused:UNUSED_PAD src0_sel:DWORD src1_sel:BYTE_0
	global_load_dwordx4 v[5:8], v19, s[12:13] offset:16
	global_load_dwordx4 v[9:12], v19, s[12:13]
	global_load_dwordx4 v[36:39], v15, s[12:13]
	ds_read2_b64 v[40:43], v20 offset0:134 offset1:199
	v_add_u32_e32 v22, 0x1000, v35
	ds_read2_b64 v[44:47], v22 offset0:8 offset1:73
	s_movk_i32 s4, 0x190
	s_waitcnt vmcnt(3) lgkmcnt(1)
	v_mul_f32_e32 v15, v1, v41
	v_mul_f32_e32 v1, v1, v40
	v_fmac_f32_e32 v15, v0, v40
	v_fma_f32 v19, v0, v41, -v1
	s_waitcnt lgkmcnt(0)
	v_mul_f32_e32 v0, v3, v44
	v_fma_f32 v23, v2, v45, -v0
	s_waitcnt vmcnt(2)
	v_mul_f32_e32 v0, v42, v6
	v_mul_f32_e32 v21, v3, v45
	v_fma_f32 v25, v43, v5, -v0
	ds_read2_b32 v[0:1], v16 offset0:134 offset1:135
	v_fmac_f32_e32 v21, v2, v44
	v_mul_f32_e32 v24, v43, v6
	v_mul_f32_e32 v40, v47, v8
	;; [unrolled: 1-line block ×3, first 2 shown]
	v_fmac_f32_e32 v24, v42, v5
	v_fmac_f32_e32 v40, v46, v7
	v_fma_f32 v41, v47, v7, -v2
	ds_read2_b64 v[5:8], v20 offset0:4 offset1:69
	s_waitcnt vmcnt(1) lgkmcnt(1)
	v_mul_f32_e32 v42, v1, v10
	v_fmac_f32_e32 v42, v9, v0
	v_mul_f32_e32 v0, v10, v0
	v_fma_f32 v43, v1, v9, -v0
	s_waitcnt lgkmcnt(0)
	v_mul_f32_e32 v0, v7, v12
	v_fma_f32 v45, v8, v11, -v0
	ds_read2_b64 v[0:3], v35 offset0:65 offset1:130
	v_mul_f32_e32 v44, v8, v12
	v_fmac_f32_e32 v44, v7, v11
	s_waitcnt vmcnt(0)
	v_mul_f32_e32 v7, v39, v6
	v_fmac_f32_e32 v7, v38, v5
	v_mul_f32_e32 v5, v39, v5
	s_waitcnt lgkmcnt(0)
	v_mul_f32_e32 v10, v37, v3
	v_fma_f32 v9, v38, v6, -v5
	v_fmac_f32_e32 v10, v36, v2
	v_mul_f32_e32 v2, v37, v2
	v_mov_b32_e32 v5, 3
	v_fma_f32 v11, v36, v3, -v2
	v_mad_u32_u24 v2, v13, s4, 0
	v_lshlrev_b32_sdwa v3, v5, v14 dst_sel:DWORD dst_unused:UNUSED_PAD src0_sel:DWORD src1_sel:BYTE_0
	v_add3_u32 v36, v2, v3, v4
	ds_read_b64 v[2:3], v34
	v_lshlrev_b32_sdwa v5, v5, v18 dst_sel:DWORD dst_unused:UNUSED_PAD src0_sel:DWORD src1_sel:BYTE_0
	v_mad_u32_u24 v6, v17, s4, 0
	v_add3_u32 v17, v6, v5, v4
	v_add_f32_e32 v4, v7, v15
	s_waitcnt lgkmcnt(0)
	v_fma_f32 v4, -0.5, v4, v2
	v_sub_f32_e32 v5, v10, v7
	v_sub_f32_e32 v6, v21, v15
	v_add_f32_e32 v5, v5, v6
	v_sub_f32_e32 v12, v11, v23
	v_mov_b32_e32 v6, v4
	v_fmac_f32_e32 v6, 0xbf737871, v12
	v_sub_f32_e32 v13, v9, v19
	v_fmac_f32_e32 v4, 0x3f737871, v12
	v_fmac_f32_e32 v6, 0xbf167918, v13
	;; [unrolled: 1-line block ×3, first 2 shown]
	v_add_f32_e32 v8, v10, v21
	v_fmac_f32_e32 v6, 0x3e9e377a, v5
	v_fmac_f32_e32 v4, 0x3e9e377a, v5
	v_add_f32_e32 v5, v2, v10
	v_fma_f32 v2, -0.5, v8, v2
	v_sub_f32_e32 v8, v7, v10
	v_sub_f32_e32 v14, v15, v21
	v_add_f32_e32 v14, v8, v14
	v_mov_b32_e32 v8, v2
	v_fmac_f32_e32 v8, 0x3f737871, v13
	v_fmac_f32_e32 v2, 0xbf737871, v13
	;; [unrolled: 1-line block ×4, first 2 shown]
	v_add_f32_e32 v5, v5, v7
	v_add_f32_e32 v12, v3, v11
	;; [unrolled: 1-line block ×8, first 2 shown]
	v_fma_f32 v5, -0.5, v5, v3
	v_sub_f32_e32 v12, v7, v15
	v_sub_f32_e32 v7, v11, v9
	;; [unrolled: 1-line block ×4, first 2 shown]
	v_add_f32_e32 v13, v7, v13
	v_mov_b32_e32 v7, v5
	v_fmac_f32_e32 v7, 0x3f737871, v10
	v_fmac_f32_e32 v5, 0xbf737871, v10
	;; [unrolled: 1-line block ×6, first 2 shown]
	v_add_f32_e32 v13, v11, v23
	v_fmac_f32_e32 v3, -0.5, v13
	v_sub_f32_e32 v9, v9, v11
	v_sub_f32_e32 v11, v19, v23
	v_add_f32_e32 v11, v9, v11
	v_mov_b32_e32 v9, v3
	v_fmac_f32_e32 v9, 0xbf737871, v12
	v_fmac_f32_e32 v3, 0x3f737871, v12
	v_add_f32_e32 v12, v44, v24
	v_fma_f32 v18, -0.5, v12, v0
	v_fmac_f32_e32 v9, 0x3f167918, v10
	v_fmac_f32_e32 v3, 0xbf167918, v10
	v_mov_b32_e32 v12, v18
	v_sub_f32_e32 v13, v43, v41
	v_fmac_f32_e32 v9, 0x3e9e377a, v11
	v_fmac_f32_e32 v3, 0x3e9e377a, v11
	v_sub_f32_e32 v10, v42, v44
	v_sub_f32_e32 v11, v40, v24
	v_fmac_f32_e32 v12, 0xbf737871, v13
	v_sub_f32_e32 v15, v45, v25
	v_fmac_f32_e32 v18, 0x3f737871, v13
	v_add_f32_e32 v11, v10, v11
	v_fmac_f32_e32 v12, 0xbf167918, v15
	v_fmac_f32_e32 v18, 0x3f167918, v15
	;; [unrolled: 1-line block ×4, first 2 shown]
	v_add_f32_e32 v11, v42, v40
	v_fmac_f32_e32 v8, 0x3e9e377a, v14
	v_fmac_f32_e32 v2, 0x3e9e377a, v14
	v_add_f32_e32 v10, v0, v42
	v_fma_f32 v0, -0.5, v11, v0
	v_sub_f32_e32 v11, v44, v42
	v_sub_f32_e32 v14, v24, v40
	v_add_f32_e32 v11, v11, v14
	v_mov_b32_e32 v14, v0
	v_fmac_f32_e32 v14, 0x3f737871, v15
	v_fmac_f32_e32 v0, 0xbf737871, v15
	;; [unrolled: 1-line block ×4, first 2 shown]
	v_add_f32_e32 v13, v45, v25
	v_fma_f32 v19, -0.5, v13, v1
	v_sub_f32_e32 v13, v43, v45
	v_sub_f32_e32 v15, v41, v25
	;; [unrolled: 1-line block ×3, first 2 shown]
	v_add_f32_e32 v15, v13, v15
	v_mov_b32_e32 v13, v19
	v_sub_f32_e32 v23, v44, v24
	v_fmac_f32_e32 v13, 0x3f737871, v21
	v_fmac_f32_e32 v19, 0xbf737871, v21
	;; [unrolled: 1-line block ×4, first 2 shown]
	v_add_f32_e32 v10, v10, v44
	v_fmac_f32_e32 v13, 0x3e9e377a, v15
	v_fmac_f32_e32 v19, 0x3e9e377a, v15
	v_add_f32_e32 v15, v43, v41
	v_add_f32_e32 v10, v10, v24
	v_fmac_f32_e32 v14, 0x3e9e377a, v11
	v_fmac_f32_e32 v0, 0x3e9e377a, v11
	v_add_f32_e32 v11, v1, v43
	v_fmac_f32_e32 v1, -0.5, v15
	v_sub_f32_e32 v15, v45, v43
	v_sub_f32_e32 v24, v25, v41
	v_add_f32_e32 v24, v15, v24
	v_mov_b32_e32 v15, v1
	v_add_f32_e32 v11, v11, v45
	v_fmac_f32_e32 v15, 0xbf737871, v23
	v_fmac_f32_e32 v1, 0x3f737871, v23
	v_add_f32_e32 v11, v11, v25
	v_fmac_f32_e32 v15, 0x3f167918, v21
	v_fmac_f32_e32 v1, 0xbf167918, v21
	v_add_f32_e32 v10, v10, v40
	v_add_f32_e32 v11, v11, v41
	v_fmac_f32_e32 v15, 0x3e9e377a, v24
	v_fmac_f32_e32 v1, 0x3e9e377a, v24
	s_barrier
	ds_write2_b64 v36, v[31:32], v[6:7] offset1:10
	ds_write2_b64 v36, v[8:9], v[2:3] offset0:20 offset1:30
	ds_write_b64 v36, v[4:5] offset:320
	ds_write2_b64 v17, v[10:11], v[12:13] offset1:10
	ds_write2_b64 v17, v[14:15], v[0:1] offset0:20 offset1:30
	ds_write_b64 v17, v[18:19] offset:320
	s_waitcnt lgkmcnt(0)
	s_barrier
	s_waitcnt lgkmcnt(0)
                                        ; implicit-def: $vgpr25
	s_and_saveexec_b64 s[4:5], vcc
	s_cbranch_execz .LBB0_20
; %bb.19:
	ds_read_b64 v[31:32], v34
	ds_read2_b64 v[6:9], v35 offset0:50 offset1:100
	ds_read2_b64 v[2:5], v35 offset0:150 offset1:200
	;; [unrolled: 1-line block ×6, first 2 shown]
	s_waitcnt lgkmcnt(2)
	v_mov_b32_e32 v1, v17
	v_mov_b32_e32 v0, v16
.LBB0_20:
	s_or_b64 exec, exec, s[4:5]
	s_waitcnt lgkmcnt(0)
	s_barrier
	s_and_saveexec_b64 s[4:5], vcc
	s_cbranch_execz .LBB0_22
; %bb.21:
	v_subrev_u32_e32 v16, 50, v30
	v_cndmask_b32_e32 v16, v16, v30, vcc
	v_mul_i32_i24_e32 v16, 12, v16
	v_mov_b32_e32 v17, 0
	v_lshlrev_b64 v[16:17], 3, v[16:17]
	v_mov_b32_e32 v36, s13
	v_add_co_u32_e32 v16, vcc, s12, v16
	v_addc_co_u32_e32 v17, vcc, v36, v17, vcc
	global_load_dwordx4 v[36:39], v[16:17], off offset:320
	global_load_dwordx4 v[40:43], v[16:17], off offset:400
	global_load_dwordx4 v[44:47], v[16:17], off offset:384
	global_load_dwordx4 v[48:51], v[16:17], off offset:336
	global_load_dwordx4 v[52:55], v[16:17], off offset:368
	global_load_dwordx4 v[56:59], v[16:17], off offset:352
	s_mov_b32 s6, 0xbf788fa5
	s_mov_b32 s7, 0x3f62ad3f
	s_mov_b32 s8, 0xbf3f9e67
	s_mov_b32 s9, 0x3f116cb1
	s_mov_b32 s12, 0xbeb58ec6
	s_mov_b32 s13, 0x3df6dbef
	s_waitcnt vmcnt(5)
	v_mul_f32_e32 v16, v6, v37
	s_waitcnt vmcnt(4)
	v_mul_f32_e32 v60, v24, v43
	v_mul_f32_e32 v37, v7, v37
	;; [unrolled: 1-line block ×5, first 2 shown]
	v_fma_f32 v70, v7, v36, -v16
	v_fma_f32 v25, v25, v42, -v60
	v_mul_f32_e32 v41, v23, v41
	s_waitcnt vmcnt(3)
	v_mul_f32_e32 v62, v20, v47
	s_waitcnt vmcnt(2)
	v_mul_f32_e32 v63, v2, v49
	v_mul_f32_e32 v65, v4, v51
	;; [unrolled: 1-line block ×3, first 2 shown]
	v_fmac_f32_e32 v37, v6, v36
	v_fma_f32 v36, v9, v38, -v17
	v_fma_f32 v23, v23, v40, -v61
	v_add_f32_e32 v16, v70, v25
	v_mul_f32_e32 v39, v9, v39
	v_mul_f32_e32 v47, v21, v47
	s_waitcnt vmcnt(1)
	v_mul_f32_e32 v68, v14, v53
	v_mul_f32_e32 v53, v15, v53
	v_fmac_f32_e32 v43, v24, v42
	v_fmac_f32_e32 v41, v22, v40
	v_fma_f32 v22, v3, v48, -v63
	v_fma_f32 v24, v5, v50, -v65
	v_fmac_f32_e32 v51, v4, v50
	v_fma_f32 v21, v21, v46, -v62
	v_add_f32_e32 v17, v36, v23
	v_mul_f32_e32 v50, 0xbf788fa5, v16
	v_mul_f32_e32 v49, v3, v49
	;; [unrolled: 1-line block ×6, first 2 shown]
	v_fmac_f32_e32 v39, v8, v38
	v_fma_f32 v38, v15, v52, -v68
	v_fmac_f32_e32 v53, v14, v52
	v_sub_f32_e32 v5, v37, v43
	v_add_f32_e32 v42, v22, v21
	v_mul_f32_e32 v52, 0x3f62ad3f, v17
	v_mov_b32_e32 v6, v50
	v_fmac_f32_e32 v49, v2, v48
	v_fmac_f32_e32 v47, v20, v46
	;; [unrolled: 1-line block ×3, first 2 shown]
	v_fma_f32 v18, v1, v54, -v66
	v_fmac_f32_e32 v55, v0, v54
	v_sub_f32_e32 v4, v39, v41
	v_sub_f32_e32 v48, v70, v25
	v_mul_f32_e32 v54, 0xbf3f9e67, v42
	v_mov_b32_e32 v7, v52
	v_fmac_f32_e32 v6, 0x3e750f2a, v5
	s_waitcnt vmcnt(0)
	v_mul_f32_e32 v67, v10, v57
	v_sub_f32_e32 v3, v49, v47
	v_mul_f32_e32 v60, 0xbe750f2a, v48
	v_mov_b32_e32 v8, v54
	v_fmac_f32_e32 v7, 0xbeedf032, v4
	v_add_f32_e32 v6, v32, v6
	v_sub_f32_e32 v62, v36, v23
	v_mul_f32_e32 v57, v11, v57
	v_fma_f32 v20, v11, v56, -v67
	v_add_f32_e32 v1, v37, v43
	v_mov_b32_e32 v11, v60
	v_fmac_f32_e32 v8, 0x3f29c268, v3
	v_add_f32_e32 v6, v7, v6
	v_mul_f32_e32 v63, 0x3eedf032, v62
	v_add_f32_e32 v6, v8, v6
	v_fmac_f32_e32 v11, 0xbf788fa5, v1
	v_add_f32_e32 v61, v39, v41
	v_mov_b32_e32 v8, v63
	v_sub_f32_e32 v65, v22, v21
	v_fma_f32 v19, v19, v44, -v64
	v_add_f32_e32 v7, v31, v11
	v_fmac_f32_e32 v8, 0x3f62ad3f, v61
	v_mul_f32_e32 v66, 0xbf29c268, v65
	v_mul_f32_e32 v69, v12, v59
	v_add_f32_e32 v7, v8, v7
	v_add_f32_e32 v64, v49, v47
	v_mov_b32_e32 v8, v66
	v_sub_f32_e32 v68, v24, v19
	v_fma_f32 v40, v13, v58, -v69
	v_fmac_f32_e32 v8, 0xbf3f9e67, v64
	v_mul_f32_e32 v69, 0x3f52af12, v68
	v_add_f32_e32 v44, v24, v19
	v_add_f32_e32 v7, v8, v7
	;; [unrolled: 1-line block ×3, first 2 shown]
	v_mov_b32_e32 v8, v69
	v_sub_f32_e32 v72, v20, v18
	v_mul_f32_e32 v59, v13, v59
	v_fmac_f32_e32 v57, v10, v56
	v_add_f32_e32 v46, v20, v18
	v_mul_f32_e32 v56, 0x3f116cb1, v44
	v_fmac_f32_e32 v8, 0x3f116cb1, v67
	v_mul_f32_e32 v73, 0xbf6f5d39, v72
	v_fmac_f32_e32 v59, v12, v58
	v_sub_f32_e32 v2, v51, v45
	v_mul_f32_e32 v58, 0xbeb58ec6, v46
	v_mov_b32_e32 v9, v56
	v_add_f32_e32 v7, v8, v7
	v_add_f32_e32 v71, v57, v55
	v_mov_b32_e32 v8, v73
	v_add_f32_e32 v74, v40, v38
	v_sub_f32_e32 v0, v57, v55
	v_mov_b32_e32 v10, v58
	v_fmac_f32_e32 v9, 0xbf52af12, v2
	v_fmac_f32_e32 v8, 0xbeb58ec6, v71
	v_mul_f32_e32 v75, 0x3df6dbef, v74
	v_fmac_f32_e32 v10, 0x3f6f5d39, v0
	v_add_f32_e32 v6, v9, v6
	v_add_f32_e32 v8, v8, v7
	v_sub_f32_e32 v76, v59, v53
	v_mov_b32_e32 v7, v75
	v_sub_f32_e32 v78, v40, v38
	v_add_f32_e32 v6, v10, v6
	v_fmac_f32_e32 v7, 0xbf7e222b, v76
	v_mul_f32_e32 v79, 0x3f7e222b, v78
	v_add_f32_e32 v7, v7, v6
	v_add_f32_e32 v77, v59, v53
	v_mov_b32_e32 v6, v79
	v_fmac_f32_e32 v6, 0x3df6dbef, v77
	v_mul_f32_e32 v80, 0xbf3f9e67, v16
	v_add_f32_e32 v6, v6, v8
	v_mov_b32_e32 v8, v80
	v_mul_f32_e32 v81, 0x3df6dbef, v17
	v_fmac_f32_e32 v8, 0x3f29c268, v5
	v_mov_b32_e32 v9, v81
	v_add_f32_e32 v8, v32, v8
	v_fmac_f32_e32 v9, 0xbf7e222b, v4
	v_mul_f32_e32 v82, 0x3f116cb1, v42
	v_add_f32_e32 v8, v9, v8
	v_mov_b32_e32 v9, v82
	v_fmac_f32_e32 v9, 0x3f52af12, v3
	v_mul_f32_e32 v83, 0xbf788fa5, v44
	v_add_f32_e32 v8, v9, v8
	v_mov_b32_e32 v9, v83
	v_fmac_f32_e32 v9, 0xbe750f2a, v2
	v_mul_f32_e32 v84, 0x3f62ad3f, v46
	v_add_f32_e32 v8, v9, v8
	v_mov_b32_e32 v9, v84
	v_fmac_f32_e32 v9, 0xbeedf032, v0
	v_mul_f32_e32 v85, 0xbf29c268, v48
	v_add_f32_e32 v8, v9, v8
	v_mov_b32_e32 v9, v85
	v_mul_f32_e32 v86, 0x3f7e222b, v62
	v_fmac_f32_e32 v9, 0xbf3f9e67, v1
	v_mov_b32_e32 v10, v86
	v_add_f32_e32 v9, v31, v9
	v_fmac_f32_e32 v10, 0x3df6dbef, v61
	v_mul_f32_e32 v87, 0xbf52af12, v65
	v_add_f32_e32 v9, v10, v9
	v_mov_b32_e32 v10, v87
	v_fmac_f32_e32 v10, 0x3f116cb1, v64
	v_mul_f32_e32 v88, 0x3e750f2a, v68
	v_add_f32_e32 v9, v10, v9
	v_mov_b32_e32 v10, v88
	v_fmac_f32_e32 v10, 0xbf788fa5, v67
	v_mul_f32_e32 v89, 0x3eedf032, v72
	v_add_f32_e32 v9, v10, v9
	v_mov_b32_e32 v10, v89
	v_fmac_f32_e32 v10, 0x3f62ad3f, v71
	v_mul_f32_e32 v90, 0xbeb58ec6, v74
	v_add_f32_e32 v10, v10, v9
	v_mov_b32_e32 v9, v90
	v_fmac_f32_e32 v9, 0x3f6f5d39, v76
	v_mul_f32_e32 v91, 0xbf6f5d39, v78
	v_add_f32_e32 v9, v9, v8
	v_mov_b32_e32 v8, v91
	v_fmac_f32_e32 v8, 0xbeb58ec6, v77
	v_mul_f32_e32 v92, 0xbeb58ec6, v16
	v_add_f32_e32 v8, v8, v10
	v_mov_b32_e32 v10, v92
	v_mul_f32_e32 v93, 0xbf3f9e67, v17
	v_fmac_f32_e32 v10, 0x3f6f5d39, v5
	v_mov_b32_e32 v11, v93
	v_add_f32_e32 v10, v32, v10
	v_fmac_f32_e32 v11, 0xbf29c268, v4
	v_mul_f32_e32 v94, 0x3f62ad3f, v42
	v_add_f32_e32 v10, v11, v10
	v_mov_b32_e32 v11, v94
	v_fmac_f32_e32 v11, 0xbeedf032, v3
	v_mul_f32_e32 v95, 0x3df6dbef, v44
	v_add_f32_e32 v10, v11, v10
	v_mov_b32_e32 v11, v95
	v_fmac_f32_e32 v11, 0x3f7e222b, v2
	v_mul_f32_e32 v96, 0xbf788fa5, v46
	v_add_f32_e32 v10, v11, v10
	v_mov_b32_e32 v11, v96
	v_fmac_f32_e32 v11, 0xbe750f2a, v0
	v_mul_f32_e32 v97, 0xbf6f5d39, v48
	v_add_f32_e32 v10, v11, v10
	v_mov_b32_e32 v11, v97
	v_mul_f32_e32 v98, 0x3f29c268, v62
	v_fmac_f32_e32 v11, 0xbeb58ec6, v1
	v_mov_b32_e32 v12, v98
	v_add_f32_e32 v11, v31, v11
	v_fmac_f32_e32 v12, 0xbf3f9e67, v61
	v_mul_f32_e32 v99, 0x3eedf032, v65
	v_add_f32_e32 v11, v12, v11
	v_mov_b32_e32 v12, v99
	v_fmac_f32_e32 v12, 0x3f62ad3f, v64
	v_mul_f32_e32 v100, 0xbf7e222b, v68
	v_add_f32_e32 v11, v12, v11
	v_mov_b32_e32 v12, v100
	v_fmac_f32_e32 v12, 0x3df6dbef, v67
	v_mul_f32_e32 v101, 0x3e750f2a, v72
	v_add_f32_e32 v11, v12, v11
	v_mov_b32_e32 v12, v101
	v_fmac_f32_e32 v12, 0xbf788fa5, v71
	v_mul_f32_e32 v102, 0x3f116cb1, v74
	v_add_f32_e32 v12, v12, v11
	v_mov_b32_e32 v11, v102
	v_fmac_f32_e32 v11, 0xbf52af12, v76
	v_mul_f32_e32 v103, 0x3f52af12, v78
	;; [unrolled: 48-line block ×3, first 2 shown]
	v_add_f32_e32 v13, v13, v12
	v_mov_b32_e32 v12, v115
	v_add_f32_e32 v70, v32, v70
	v_fmac_f32_e32 v12, 0xbf3f9e67, v77
	v_mul_f32_e32 v116, 0x3f116cb1, v16
	v_add_f32_e32 v36, v70, v36
	v_add_f32_e32 v12, v12, v14
	v_mov_b32_e32 v14, v116
	v_mul_f32_e32 v117, 0xbeb58ec6, v17
	v_add_f32_e32 v22, v36, v22
	v_fmac_f32_e32 v14, 0x3f52af12, v5
	v_mov_b32_e32 v15, v117
	v_add_f32_e32 v22, v22, v24
	v_add_f32_e32 v14, v32, v14
	v_fmac_f32_e32 v15, 0x3f6f5d39, v4
	v_mul_f32_e32 v118, 0xbf788fa5, v42
	v_add_f32_e32 v20, v22, v20
	v_add_f32_e32 v14, v15, v14
	v_mov_b32_e32 v15, v118
	v_add_f32_e32 v20, v20, v40
	v_fmac_f32_e32 v15, 0x3e750f2a, v3
	v_mul_f32_e32 v119, 0xbf3f9e67, v44
	v_add_f32_e32 v20, v20, v38
	v_add_f32_e32 v14, v15, v14
	v_mov_b32_e32 v15, v119
	v_add_f32_e32 v18, v20, v18
	v_fmac_f32_e32 v15, 0xbf29c268, v2
	v_mul_f32_e32 v120, 0x3df6dbef, v46
	v_add_f32_e32 v18, v18, v19
	v_add_f32_e32 v19, v31, v37
	;; [unrolled: 1-line block ×3, first 2 shown]
	v_mov_b32_e32 v15, v120
	v_add_f32_e32 v19, v19, v39
	v_fmac_f32_e32 v15, 0xbf7e222b, v0
	v_mul_f32_e32 v121, 0xbf52af12, v48
	v_add_f32_e32 v19, v19, v49
	v_add_f32_e32 v14, v15, v14
	v_mov_b32_e32 v15, v121
	v_mul_f32_e32 v122, 0xbf6f5d39, v62
	v_add_f32_e32 v19, v19, v51
	v_fmac_f32_e32 v15, 0x3f116cb1, v1
	v_mov_b32_e32 v123, v122
	v_add_f32_e32 v19, v19, v57
	v_add_f32_e32 v15, v31, v15
	v_fmac_f32_e32 v123, 0xbeb58ec6, v61
	v_add_f32_e32 v19, v19, v59
	v_add_f32_e32 v15, v123, v15
	v_mul_f32_e32 v123, 0xbe750f2a, v65
	v_add_f32_e32 v19, v19, v53
	v_mov_b32_e32 v124, v123
	v_add_f32_e32 v19, v19, v55
	v_fmac_f32_e32 v124, 0xbf788fa5, v64
	v_add_f32_e32 v19, v19, v45
	v_add_f32_e32 v15, v124, v15
	v_mul_f32_e32 v124, 0x3f29c268, v68
	v_add_f32_e32 v18, v18, v21
	v_add_f32_e32 v19, v19, v47
	v_mov_b32_e32 v125, v124
	v_add_f32_e32 v18, v18, v23
	v_add_f32_e32 v20, v19, v41
	v_fmac_f32_e32 v50, 0xbe750f2a, v5
	v_fmac_f32_e32 v125, 0xbf3f9e67, v67
	v_add_f32_e32 v19, v18, v25
	v_add_f32_e32 v18, v20, v43
	;; [unrolled: 1-line block ×3, first 2 shown]
	v_fmac_f32_e32 v52, 0x3eedf032, v4
	v_fma_f32 v21, v1, s6, -v60
	v_add_f32_e32 v15, v125, v15
	v_mul_f32_e32 v125, 0x3f7e222b, v72
	v_add_f32_e32 v20, v52, v20
	v_fmac_f32_e32 v54, 0xbf29c268, v3
	v_add_f32_e32 v21, v31, v21
	v_fma_f32 v22, v61, s7, -v63
	v_mov_b32_e32 v126, v125
	v_add_f32_e32 v20, v54, v20
	v_fmac_f32_e32 v56, 0x3f52af12, v2
	v_add_f32_e32 v21, v22, v21
	v_fma_f32 v22, v64, s8, -v66
	v_fmac_f32_e32 v126, 0x3df6dbef, v71
	v_mul_f32_e32 v127, 0x3f62ad3f, v74
	v_add_f32_e32 v20, v56, v20
	v_fmac_f32_e32 v58, 0xbf6f5d39, v0
	v_add_f32_e32 v21, v22, v21
	v_fma_f32 v22, v67, s9, -v69
	v_add_f32_e32 v126, v126, v15
	v_mov_b32_e32 v15, v127
	v_add_f32_e32 v20, v58, v20
	v_add_f32_e32 v21, v22, v21
	v_fma_f32 v22, v71, s12, -v73
	v_fmac_f32_e32 v75, 0x3f7e222b, v76
	v_fmac_f32_e32 v15, 0xbeedf032, v76
	v_mul_f32_e32 v128, 0x3eedf032, v78
	v_add_f32_e32 v22, v22, v21
	v_add_f32_e32 v21, v75, v20
	v_fma_f32 v20, v77, s13, -v79
	v_fmac_f32_e32 v80, 0xbf29c268, v5
	v_add_f32_e32 v15, v15, v14
	v_mov_b32_e32 v14, v128
	v_add_f32_e32 v20, v20, v22
	v_add_f32_e32 v22, v32, v80
	v_fmac_f32_e32 v81, 0x3f7e222b, v4
	v_fma_f32 v23, v1, s8, -v85
	v_fmac_f32_e32 v14, 0x3f62ad3f, v77
	v_add_f32_e32 v22, v81, v22
	v_fmac_f32_e32 v82, 0xbf52af12, v3
	v_add_f32_e32 v23, v31, v23
	v_fma_f32 v24, v61, s13, -v86
	v_add_f32_e32 v14, v14, v126
	v_mul_f32_e32 v126, 0x3f62ad3f, v16
	v_add_f32_e32 v22, v82, v22
	v_fmac_f32_e32 v83, 0x3e750f2a, v2
	v_add_f32_e32 v23, v24, v23
	v_fma_f32 v24, v64, s9, -v87
	v_mov_b32_e32 v16, v126
	v_mul_f32_e32 v129, 0x3f116cb1, v17
	v_add_f32_e32 v22, v83, v22
	v_fmac_f32_e32 v84, 0x3eedf032, v0
	v_add_f32_e32 v23, v24, v23
	v_fma_f32 v24, v67, s6, -v88
	v_fmac_f32_e32 v16, 0x3eedf032, v5
	v_mov_b32_e32 v17, v129
	v_add_f32_e32 v22, v84, v22
	v_add_f32_e32 v23, v24, v23
	v_fma_f32 v24, v71, s7, -v89
	v_fmac_f32_e32 v90, 0xbf6f5d39, v76
	v_add_f32_e32 v16, v32, v16
	v_fmac_f32_e32 v17, 0x3f52af12, v4
	v_mul_f32_e32 v42, 0x3df6dbef, v42
	v_add_f32_e32 v24, v24, v23
	v_add_f32_e32 v23, v90, v22
	v_fma_f32 v22, v77, s12, -v91
	v_fmac_f32_e32 v92, 0xbf6f5d39, v5
	v_add_f32_e32 v16, v17, v16
	v_mov_b32_e32 v17, v42
	v_add_f32_e32 v22, v22, v24
	v_add_f32_e32 v24, v32, v92
	v_fmac_f32_e32 v93, 0x3f29c268, v4
	v_fma_f32 v25, v1, s12, -v97
	v_fmac_f32_e32 v17, 0x3f7e222b, v3
	v_mul_f32_e32 v44, 0xbeb58ec6, v44
	v_add_f32_e32 v24, v93, v24
	v_fmac_f32_e32 v94, 0x3eedf032, v3
	v_add_f32_e32 v25, v31, v25
	v_fma_f32 v36, v61, s8, -v98
	v_add_f32_e32 v16, v17, v16
	v_mov_b32_e32 v17, v44
	v_add_f32_e32 v24, v94, v24
	v_fmac_f32_e32 v95, 0xbf7e222b, v2
	v_add_f32_e32 v25, v36, v25
	v_fma_f32 v36, v64, s7, -v99
	v_fmac_f32_e32 v17, 0x3f6f5d39, v2
	v_mul_f32_e32 v46, 0xbf3f9e67, v46
	v_add_f32_e32 v24, v95, v24
	v_fmac_f32_e32 v96, 0x3e750f2a, v0
	v_add_f32_e32 v25, v36, v25
	v_fma_f32 v36, v67, s13, -v100
	v_add_f32_e32 v16, v17, v16
	v_mov_b32_e32 v17, v46
	v_add_f32_e32 v24, v96, v24
	v_add_f32_e32 v25, v36, v25
	v_fma_f32 v36, v71, s6, -v101
	v_fmac_f32_e32 v102, 0x3f52af12, v76
	v_fmac_f32_e32 v17, 0x3f29c268, v0
	v_mul_f32_e32 v48, 0xbeedf032, v48
	v_add_f32_e32 v36, v36, v25
	v_add_f32_e32 v25, v102, v24
	v_fma_f32 v24, v77, s9, -v103
	v_fmac_f32_e32 v104, 0xbf7e222b, v5
	v_add_f32_e32 v16, v17, v16
	v_mov_b32_e32 v17, v48
	v_mul_f32_e32 v62, 0xbf52af12, v62
	v_add_f32_e32 v24, v24, v36
	v_add_f32_e32 v36, v32, v104
	v_fmac_f32_e32 v105, 0xbe750f2a, v4
	v_fma_f32 v37, v1, s13, -v109
	v_fmac_f32_e32 v17, 0x3f62ad3f, v1
	v_mov_b32_e32 v130, v62
	v_add_f32_e32 v36, v105, v36
	v_fmac_f32_e32 v106, 0x3f6f5d39, v3
	v_add_f32_e32 v37, v31, v37
	v_fma_f32 v38, v61, s6, -v110
	v_add_f32_e32 v17, v31, v17
	v_fmac_f32_e32 v130, 0x3f116cb1, v61
	v_mul_f32_e32 v65, 0xbf7e222b, v65
	v_add_f32_e32 v36, v106, v36
	v_fmac_f32_e32 v107, 0x3eedf032, v2
	v_add_f32_e32 v37, v38, v37
	v_fma_f32 v38, v64, s12, -v111
	v_add_f32_e32 v17, v130, v17
	v_mov_b32_e32 v130, v65
	v_add_f32_e32 v36, v107, v36
	v_fmac_f32_e32 v108, 0xbf52af12, v0
	v_add_f32_e32 v37, v38, v37
	v_fma_f32 v38, v67, s7, -v112
	v_fmac_f32_e32 v130, 0x3df6dbef, v64
	v_mul_f32_e32 v68, 0xbf6f5d39, v68
	v_add_f32_e32 v36, v108, v36
	v_add_f32_e32 v37, v38, v37
	v_fma_f32 v38, v71, s9, -v113
	v_fmac_f32_e32 v114, 0xbf29c268, v76
	v_fmac_f32_e32 v126, 0xbeedf032, v5
	v_add_f32_e32 v17, v130, v17
	v_mov_b32_e32 v130, v68
	v_add_f32_e32 v38, v38, v37
	v_add_f32_e32 v37, v114, v36
	v_fma_f32 v36, v77, s8, -v115
	v_fmac_f32_e32 v116, 0xbf52af12, v5
	v_add_f32_e32 v5, v32, v126
	v_fmac_f32_e32 v129, 0xbf52af12, v4
	v_fmac_f32_e32 v130, 0xbeb58ec6, v67
	v_mul_f32_e32 v72, 0xbf29c268, v72
	v_add_f32_e32 v36, v36, v38
	v_add_f32_e32 v38, v32, v116
	v_fmac_f32_e32 v117, 0xbf6f5d39, v4
	v_add_f32_e32 v4, v129, v5
	v_fmac_f32_e32 v42, 0xbf7e222b, v3
	v_add_f32_e32 v17, v130, v17
	v_mov_b32_e32 v130, v72
	v_add_f32_e32 v38, v117, v38
	v_fmac_f32_e32 v118, 0xbe750f2a, v3
	v_add_f32_e32 v3, v42, v4
	v_fmac_f32_e32 v44, 0xbf6f5d39, v2
	v_fmac_f32_e32 v130, 0xbf3f9e67, v71
	v_mul_f32_e32 v74, 0xbf788fa5, v74
	v_add_f32_e32 v38, v118, v38
	v_fmac_f32_e32 v119, 0x3f29c268, v2
	v_add_f32_e32 v2, v44, v3
	v_fmac_f32_e32 v46, 0xbf29c268, v0
	v_add_f32_e32 v130, v130, v17
	v_mov_b32_e32 v17, v74
	v_add_f32_e32 v38, v119, v38
	v_fmac_f32_e32 v120, 0x3f7e222b, v0
	v_add_f32_e32 v0, v46, v2
	v_fmac_f32_e32 v74, 0xbe750f2a, v76
	;; [unrolled: 2-line block ×3, first 2 shown]
	v_add_f32_e32 v2, v74, v0
	v_fma_f32 v0, v1, s7, -v48
	v_add_f32_e32 v39, v127, v38
	v_fma_f32 v38, v1, s9, -v121
	;; [unrolled: 2-line block ×6, first 2 shown]
	v_fmac_f32_e32 v17, 0x3e750f2a, v76
	v_mul_f32_e32 v78, 0xbe750f2a, v78
	v_add_f32_e32 v38, v40, v38
	v_fma_f32 v40, v64, s6, -v123
	v_add_f32_e32 v0, v1, v0
	v_fma_f32 v1, v71, s8, -v72
	v_add_f32_e32 v17, v17, v16
	v_mov_b32_e32 v16, v78
	v_add_f32_e32 v38, v40, v38
	v_fma_f32 v40, v67, s8, -v124
	v_add_f32_e32 v0, v1, v0
	v_fma_f32 v1, v77, s6, -v78
	v_fmac_f32_e32 v16, 0xbf788fa5, v77
	v_add_f32_e32 v38, v40, v38
	v_fma_f32 v40, v71, s13, -v125
	v_add_f32_e32 v1, v1, v0
	v_add_u32_e32 v0, 0x400, v35
	v_add_f32_e32 v16, v16, v130
	v_add_f32_e32 v38, v40, v38
	v_fma_f32 v40, v77, s7, -v128
	ds_write_b64 v34, v[18:19]
	ds_write2_b64 v35, v[16:17], v[14:15] offset0:50 offset1:100
	ds_write2_b64 v35, v[12:13], v[10:11] offset0:150 offset1:200
	;; [unrolled: 1-line block ×3, first 2 shown]
	v_add_u32_e32 v0, 0x800, v35
	v_add_f32_e32 v38, v40, v38
	ds_write2_b64 v0, v[20:21], v[22:23] offset0:94 offset1:144
	ds_write2_b64 v0, v[24:25], v[36:37] offset0:194 offset1:244
	v_add_u32_e32 v0, 0x1000, v35
	ds_write2_b64 v0, v[38:39], v[1:2] offset0:38 offset1:88
.LBB0_22:
	s_or_b64 exec, exec, s[4:5]
	s_waitcnt lgkmcnt(0)
	s_barrier
	s_and_saveexec_b64 s[4:5], s[0:1]
	s_cbranch_execz .LBB0_24
; %bb.23:
	v_mul_lo_u32 v0, s3, v28
	v_mul_lo_u32 v1, s2, v29
	v_mad_u64_u32 v[4:5], s[0:1], s2, v28, 0
	v_mov_b32_e32 v7, s11
	v_lshl_add_u32 v6, v30, 3, v33
	v_add3_u32 v5, v5, v1, v0
	v_lshlrev_b64 v[4:5], 3, v[4:5]
	v_mov_b32_e32 v31, 0
	v_add_co_u32_e32 v8, vcc, s10, v4
	v_addc_co_u32_e32 v7, vcc, v7, v5, vcc
	v_lshlrev_b64 v[4:5], 3, v[26:27]
	ds_read2_b64 v[0:3], v6 offset1:65
	v_add_co_u32_e32 v8, vcc, v8, v4
	v_addc_co_u32_e32 v7, vcc, v7, v5, vcc
	v_lshlrev_b64 v[4:5], 3, v[30:31]
	v_add_u32_e32 v9, 0x800, v6
	v_add_co_u32_e32 v4, vcc, v8, v4
	v_addc_co_u32_e32 v5, vcc, v7, v5, vcc
	s_waitcnt lgkmcnt(0)
	global_store_dwordx2 v[4:5], v[0:1], off
	v_add_u32_e32 v0, 0x41, v30
	v_mov_b32_e32 v1, v31
	v_lshlrev_b64 v[0:1], 3, v[0:1]
	v_add_u32_e32 v4, 0x82, v30
	v_add_co_u32_e32 v0, vcc, v8, v0
	v_addc_co_u32_e32 v1, vcc, v7, v1, vcc
	global_store_dwordx2 v[0:1], v[2:3], off
	v_mov_b32_e32 v5, v31
	ds_read2_b64 v[0:3], v6 offset0:130 offset1:195
	v_lshlrev_b64 v[4:5], 3, v[4:5]
	v_add_co_u32_e32 v4, vcc, v8, v4
	v_addc_co_u32_e32 v5, vcc, v7, v5, vcc
	s_waitcnt lgkmcnt(0)
	global_store_dwordx2 v[4:5], v[0:1], off
	v_add_u32_e32 v0, 0xc3, v30
	v_mov_b32_e32 v1, v31
	v_lshlrev_b64 v[0:1], 3, v[0:1]
	v_add_u32_e32 v4, 0x104, v30
	v_add_co_u32_e32 v0, vcc, v8, v0
	v_addc_co_u32_e32 v1, vcc, v7, v1, vcc
	global_store_dwordx2 v[0:1], v[2:3], off
	v_mov_b32_e32 v5, v31
	ds_read2_b64 v[0:3], v9 offset0:4 offset1:69
	v_lshlrev_b64 v[4:5], 3, v[4:5]
	;; [unrolled: 14-line block ×3, first 2 shown]
	v_add_co_u32_e32 v4, vcc, v8, v4
	v_addc_co_u32_e32 v5, vcc, v7, v5, vcc
	s_waitcnt lgkmcnt(0)
	global_store_dwordx2 v[4:5], v[0:1], off
	v_add_u32_e32 v0, 0x1c7, v30
	v_mov_b32_e32 v1, v31
	v_lshlrev_b64 v[0:1], 3, v[0:1]
	v_add_u32_e32 v4, 0x208, v30
	v_add_co_u32_e32 v0, vcc, v8, v0
	v_addc_co_u32_e32 v1, vcc, v7, v1, vcc
	global_store_dwordx2 v[0:1], v[2:3], off
	v_add_u32_e32 v0, 0x1000, v6
	v_mov_b32_e32 v5, v31
	ds_read2_b64 v[0:3], v0 offset0:8 offset1:73
	v_lshlrev_b64 v[4:5], 3, v[4:5]
	v_add_u32_e32 v30, 0x249, v30
	v_add_co_u32_e32 v4, vcc, v8, v4
	v_addc_co_u32_e32 v5, vcc, v7, v5, vcc
	s_waitcnt lgkmcnt(0)
	global_store_dwordx2 v[4:5], v[0:1], off
	v_lshlrev_b64 v[0:1], 3, v[30:31]
	v_add_co_u32_e32 v0, vcc, v8, v0
	v_addc_co_u32_e32 v1, vcc, v7, v1, vcc
	global_store_dwordx2 v[0:1], v[2:3], off
.LBB0_24:
	s_endpgm
	.section	.rodata,"a",@progbits
	.p2align	6, 0x0
	.amdhsa_kernel fft_rtc_back_len650_factors_10_5_13_wgs_195_tpt_65_sp_op_CI_CI_unitstride_sbrr_C2R_dirReg
		.amdhsa_group_segment_fixed_size 0
		.amdhsa_private_segment_fixed_size 0
		.amdhsa_kernarg_size 104
		.amdhsa_user_sgpr_count 6
		.amdhsa_user_sgpr_private_segment_buffer 1
		.amdhsa_user_sgpr_dispatch_ptr 0
		.amdhsa_user_sgpr_queue_ptr 0
		.amdhsa_user_sgpr_kernarg_segment_ptr 1
		.amdhsa_user_sgpr_dispatch_id 0
		.amdhsa_user_sgpr_flat_scratch_init 0
		.amdhsa_user_sgpr_private_segment_size 0
		.amdhsa_uses_dynamic_stack 0
		.amdhsa_system_sgpr_private_segment_wavefront_offset 0
		.amdhsa_system_sgpr_workgroup_id_x 1
		.amdhsa_system_sgpr_workgroup_id_y 0
		.amdhsa_system_sgpr_workgroup_id_z 0
		.amdhsa_system_sgpr_workgroup_info 0
		.amdhsa_system_vgpr_workitem_id 0
		.amdhsa_next_free_vgpr 131
		.amdhsa_next_free_sgpr 28
		.amdhsa_reserve_vcc 1
		.amdhsa_reserve_flat_scratch 0
		.amdhsa_float_round_mode_32 0
		.amdhsa_float_round_mode_16_64 0
		.amdhsa_float_denorm_mode_32 3
		.amdhsa_float_denorm_mode_16_64 3
		.amdhsa_dx10_clamp 1
		.amdhsa_ieee_mode 1
		.amdhsa_fp16_overflow 0
		.amdhsa_exception_fp_ieee_invalid_op 0
		.amdhsa_exception_fp_denorm_src 0
		.amdhsa_exception_fp_ieee_div_zero 0
		.amdhsa_exception_fp_ieee_overflow 0
		.amdhsa_exception_fp_ieee_underflow 0
		.amdhsa_exception_fp_ieee_inexact 0
		.amdhsa_exception_int_div_zero 0
	.end_amdhsa_kernel
	.text
.Lfunc_end0:
	.size	fft_rtc_back_len650_factors_10_5_13_wgs_195_tpt_65_sp_op_CI_CI_unitstride_sbrr_C2R_dirReg, .Lfunc_end0-fft_rtc_back_len650_factors_10_5_13_wgs_195_tpt_65_sp_op_CI_CI_unitstride_sbrr_C2R_dirReg
                                        ; -- End function
	.section	.AMDGPU.csdata,"",@progbits
; Kernel info:
; codeLenInByte = 8488
; NumSgprs: 32
; NumVgprs: 131
; ScratchSize: 0
; MemoryBound: 0
; FloatMode: 240
; IeeeMode: 1
; LDSByteSize: 0 bytes/workgroup (compile time only)
; SGPRBlocks: 3
; VGPRBlocks: 32
; NumSGPRsForWavesPerEU: 32
; NumVGPRsForWavesPerEU: 131
; Occupancy: 1
; WaveLimiterHint : 1
; COMPUTE_PGM_RSRC2:SCRATCH_EN: 0
; COMPUTE_PGM_RSRC2:USER_SGPR: 6
; COMPUTE_PGM_RSRC2:TRAP_HANDLER: 0
; COMPUTE_PGM_RSRC2:TGID_X_EN: 1
; COMPUTE_PGM_RSRC2:TGID_Y_EN: 0
; COMPUTE_PGM_RSRC2:TGID_Z_EN: 0
; COMPUTE_PGM_RSRC2:TIDIG_COMP_CNT: 0
	.type	__hip_cuid_12975c66603b32de,@object ; @__hip_cuid_12975c66603b32de
	.section	.bss,"aw",@nobits
	.globl	__hip_cuid_12975c66603b32de
__hip_cuid_12975c66603b32de:
	.byte	0                               ; 0x0
	.size	__hip_cuid_12975c66603b32de, 1

	.ident	"AMD clang version 19.0.0git (https://github.com/RadeonOpenCompute/llvm-project roc-6.4.0 25133 c7fe45cf4b819c5991fe208aaa96edf142730f1d)"
	.section	".note.GNU-stack","",@progbits
	.addrsig
	.addrsig_sym __hip_cuid_12975c66603b32de
	.amdgpu_metadata
---
amdhsa.kernels:
  - .args:
      - .actual_access:  read_only
        .address_space:  global
        .offset:         0
        .size:           8
        .value_kind:     global_buffer
      - .offset:         8
        .size:           8
        .value_kind:     by_value
      - .actual_access:  read_only
        .address_space:  global
        .offset:         16
        .size:           8
        .value_kind:     global_buffer
      - .actual_access:  read_only
        .address_space:  global
        .offset:         24
        .size:           8
        .value_kind:     global_buffer
      - .actual_access:  read_only
        .address_space:  global
        .offset:         32
        .size:           8
        .value_kind:     global_buffer
      - .offset:         40
        .size:           8
        .value_kind:     by_value
      - .actual_access:  read_only
        .address_space:  global
        .offset:         48
        .size:           8
        .value_kind:     global_buffer
      - .actual_access:  read_only
        .address_space:  global
        .offset:         56
        .size:           8
        .value_kind:     global_buffer
      - .offset:         64
        .size:           4
        .value_kind:     by_value
      - .actual_access:  read_only
        .address_space:  global
        .offset:         72
        .size:           8
        .value_kind:     global_buffer
      - .actual_access:  read_only
        .address_space:  global
        .offset:         80
        .size:           8
        .value_kind:     global_buffer
      - .actual_access:  read_only
        .address_space:  global
        .offset:         88
        .size:           8
        .value_kind:     global_buffer
      - .actual_access:  write_only
        .address_space:  global
        .offset:         96
        .size:           8
        .value_kind:     global_buffer
    .group_segment_fixed_size: 0
    .kernarg_segment_align: 8
    .kernarg_segment_size: 104
    .language:       OpenCL C
    .language_version:
      - 2
      - 0
    .max_flat_workgroup_size: 195
    .name:           fft_rtc_back_len650_factors_10_5_13_wgs_195_tpt_65_sp_op_CI_CI_unitstride_sbrr_C2R_dirReg
    .private_segment_fixed_size: 0
    .sgpr_count:     32
    .sgpr_spill_count: 0
    .symbol:         fft_rtc_back_len650_factors_10_5_13_wgs_195_tpt_65_sp_op_CI_CI_unitstride_sbrr_C2R_dirReg.kd
    .uniform_work_group_size: 1
    .uses_dynamic_stack: false
    .vgpr_count:     131
    .vgpr_spill_count: 0
    .wavefront_size: 64
amdhsa.target:   amdgcn-amd-amdhsa--gfx906
amdhsa.version:
  - 1
  - 2
...

	.end_amdgpu_metadata
